;; amdgpu-corpus repo=ROCm/rocFFT kind=compiled arch=gfx1100 opt=O3
	.text
	.amdgcn_target "amdgcn-amd-amdhsa--gfx1100"
	.amdhsa_code_object_version 6
	.protected	fft_rtc_back_len297_factors_9_3_11_wgs_231_tpt_33_halfLds_dp_ip_CI_unitstride_sbrr_dirReg ; -- Begin function fft_rtc_back_len297_factors_9_3_11_wgs_231_tpt_33_halfLds_dp_ip_CI_unitstride_sbrr_dirReg
	.globl	fft_rtc_back_len297_factors_9_3_11_wgs_231_tpt_33_halfLds_dp_ip_CI_unitstride_sbrr_dirReg
	.p2align	8
	.type	fft_rtc_back_len297_factors_9_3_11_wgs_231_tpt_33_halfLds_dp_ip_CI_unitstride_sbrr_dirReg,@function
fft_rtc_back_len297_factors_9_3_11_wgs_231_tpt_33_halfLds_dp_ip_CI_unitstride_sbrr_dirReg: ; @fft_rtc_back_len297_factors_9_3_11_wgs_231_tpt_33_halfLds_dp_ip_CI_unitstride_sbrr_dirReg
; %bb.0:
	s_load_b128 s[4:7], s[0:1], 0x0
	v_mul_u32_u24_e32 v1, 0x7c2, v0
	s_clause 0x1
	s_load_b64 s[8:9], s[0:1], 0x50
	s_load_b64 s[10:11], s[0:1], 0x18
	s_delay_alu instid0(VALU_DEP_1) | instskip(SKIP_1) | instid1(VALU_DEP_2)
	v_lshrrev_b32_e32 v2, 16, v1
	v_mov_b32_e32 v1, 0
	v_mad_u64_u32 v[36:37], null, s15, 7, v[2:3]
	v_mov_b32_e32 v3, 0
	s_delay_alu instid0(VALU_DEP_3) | instskip(NEXT) | instid1(VALU_DEP_1)
	v_dual_mov_b32 v4, 0 :: v_dual_mov_b32 v37, v1
	v_dual_mov_b32 v7, v36 :: v_dual_mov_b32 v8, v37
	s_waitcnt lgkmcnt(0)
	v_cmp_lt_u64_e64 s2, s[6:7], 2
	s_delay_alu instid0(VALU_DEP_1)
	s_and_b32 vcc_lo, exec_lo, s2
	s_cbranch_vccnz .LBB0_8
; %bb.1:
	s_load_b64 s[2:3], s[0:1], 0x10
	v_mov_b32_e32 v3, 0
	v_dual_mov_b32 v4, 0 :: v_dual_mov_b32 v5, v36
	s_add_u32 s12, s10, 8
	v_mov_b32_e32 v6, v37
	s_addc_u32 s13, s11, 0
	s_mov_b64 s[16:17], 1
	s_waitcnt lgkmcnt(0)
	s_add_u32 s14, s2, 8
	s_addc_u32 s15, s3, 0
.LBB0_2:                                ; =>This Inner Loop Header: Depth=1
	s_load_b64 s[18:19], s[14:15], 0x0
                                        ; implicit-def: $vgpr7_vgpr8
	s_mov_b32 s2, exec_lo
	s_waitcnt lgkmcnt(0)
	v_or_b32_e32 v2, s19, v6
	s_delay_alu instid0(VALU_DEP_1)
	v_cmpx_ne_u64_e32 0, v[1:2]
	s_xor_b32 s3, exec_lo, s2
	s_cbranch_execz .LBB0_4
; %bb.3:                                ;   in Loop: Header=BB0_2 Depth=1
	v_cvt_f32_u32_e32 v2, s18
	v_cvt_f32_u32_e32 v7, s19
	s_sub_u32 s2, 0, s18
	s_subb_u32 s20, 0, s19
	s_delay_alu instid0(VALU_DEP_1) | instskip(NEXT) | instid1(VALU_DEP_1)
	v_fmac_f32_e32 v2, 0x4f800000, v7
	v_rcp_f32_e32 v2, v2
	s_waitcnt_depctr 0xfff
	v_mul_f32_e32 v2, 0x5f7ffffc, v2
	s_delay_alu instid0(VALU_DEP_1) | instskip(NEXT) | instid1(VALU_DEP_1)
	v_mul_f32_e32 v7, 0x2f800000, v2
	v_trunc_f32_e32 v7, v7
	s_delay_alu instid0(VALU_DEP_1) | instskip(SKIP_1) | instid1(VALU_DEP_2)
	v_fmac_f32_e32 v2, 0xcf800000, v7
	v_cvt_u32_f32_e32 v7, v7
	v_cvt_u32_f32_e32 v2, v2
	s_delay_alu instid0(VALU_DEP_2) | instskip(NEXT) | instid1(VALU_DEP_2)
	v_mul_lo_u32 v8, s2, v7
	v_mul_hi_u32 v9, s2, v2
	v_mul_lo_u32 v10, s20, v2
	s_delay_alu instid0(VALU_DEP_2) | instskip(SKIP_1) | instid1(VALU_DEP_2)
	v_add_nc_u32_e32 v8, v9, v8
	v_mul_lo_u32 v9, s2, v2
	v_add_nc_u32_e32 v8, v8, v10
	s_delay_alu instid0(VALU_DEP_2) | instskip(NEXT) | instid1(VALU_DEP_2)
	v_mul_hi_u32 v10, v2, v9
	v_mul_lo_u32 v11, v2, v8
	v_mul_hi_u32 v12, v2, v8
	v_mul_hi_u32 v13, v7, v9
	v_mul_lo_u32 v9, v7, v9
	v_mul_hi_u32 v14, v7, v8
	v_mul_lo_u32 v8, v7, v8
	v_add_co_u32 v10, vcc_lo, v10, v11
	v_add_co_ci_u32_e32 v11, vcc_lo, 0, v12, vcc_lo
	s_delay_alu instid0(VALU_DEP_2) | instskip(NEXT) | instid1(VALU_DEP_2)
	v_add_co_u32 v9, vcc_lo, v10, v9
	v_add_co_ci_u32_e32 v9, vcc_lo, v11, v13, vcc_lo
	v_add_co_ci_u32_e32 v10, vcc_lo, 0, v14, vcc_lo
	s_delay_alu instid0(VALU_DEP_2) | instskip(NEXT) | instid1(VALU_DEP_2)
	v_add_co_u32 v8, vcc_lo, v9, v8
	v_add_co_ci_u32_e32 v9, vcc_lo, 0, v10, vcc_lo
	s_delay_alu instid0(VALU_DEP_2) | instskip(NEXT) | instid1(VALU_DEP_2)
	v_add_co_u32 v2, vcc_lo, v2, v8
	v_add_co_ci_u32_e32 v7, vcc_lo, v7, v9, vcc_lo
	s_delay_alu instid0(VALU_DEP_2) | instskip(SKIP_1) | instid1(VALU_DEP_3)
	v_mul_hi_u32 v8, s2, v2
	v_mul_lo_u32 v10, s20, v2
	v_mul_lo_u32 v9, s2, v7
	s_delay_alu instid0(VALU_DEP_1) | instskip(SKIP_1) | instid1(VALU_DEP_2)
	v_add_nc_u32_e32 v8, v8, v9
	v_mul_lo_u32 v9, s2, v2
	v_add_nc_u32_e32 v8, v8, v10
	s_delay_alu instid0(VALU_DEP_2) | instskip(NEXT) | instid1(VALU_DEP_2)
	v_mul_hi_u32 v10, v2, v9
	v_mul_lo_u32 v11, v2, v8
	v_mul_hi_u32 v12, v2, v8
	v_mul_hi_u32 v13, v7, v9
	v_mul_lo_u32 v9, v7, v9
	v_mul_hi_u32 v14, v7, v8
	v_mul_lo_u32 v8, v7, v8
	v_add_co_u32 v10, vcc_lo, v10, v11
	v_add_co_ci_u32_e32 v11, vcc_lo, 0, v12, vcc_lo
	s_delay_alu instid0(VALU_DEP_2) | instskip(NEXT) | instid1(VALU_DEP_2)
	v_add_co_u32 v9, vcc_lo, v10, v9
	v_add_co_ci_u32_e32 v9, vcc_lo, v11, v13, vcc_lo
	v_add_co_ci_u32_e32 v10, vcc_lo, 0, v14, vcc_lo
	s_delay_alu instid0(VALU_DEP_2) | instskip(NEXT) | instid1(VALU_DEP_2)
	v_add_co_u32 v8, vcc_lo, v9, v8
	v_add_co_ci_u32_e32 v9, vcc_lo, 0, v10, vcc_lo
	s_delay_alu instid0(VALU_DEP_2) | instskip(NEXT) | instid1(VALU_DEP_2)
	v_add_co_u32 v2, vcc_lo, v2, v8
	v_add_co_ci_u32_e32 v13, vcc_lo, v7, v9, vcc_lo
	s_delay_alu instid0(VALU_DEP_2) | instskip(SKIP_1) | instid1(VALU_DEP_3)
	v_mul_hi_u32 v14, v5, v2
	v_mad_u64_u32 v[9:10], null, v6, v2, 0
	v_mad_u64_u32 v[7:8], null, v5, v13, 0
	;; [unrolled: 1-line block ×3, first 2 shown]
	s_delay_alu instid0(VALU_DEP_2) | instskip(NEXT) | instid1(VALU_DEP_3)
	v_add_co_u32 v2, vcc_lo, v14, v7
	v_add_co_ci_u32_e32 v7, vcc_lo, 0, v8, vcc_lo
	s_delay_alu instid0(VALU_DEP_2) | instskip(NEXT) | instid1(VALU_DEP_2)
	v_add_co_u32 v2, vcc_lo, v2, v9
	v_add_co_ci_u32_e32 v2, vcc_lo, v7, v10, vcc_lo
	v_add_co_ci_u32_e32 v7, vcc_lo, 0, v12, vcc_lo
	s_delay_alu instid0(VALU_DEP_2) | instskip(NEXT) | instid1(VALU_DEP_2)
	v_add_co_u32 v2, vcc_lo, v2, v11
	v_add_co_ci_u32_e32 v9, vcc_lo, 0, v7, vcc_lo
	s_delay_alu instid0(VALU_DEP_2) | instskip(SKIP_1) | instid1(VALU_DEP_3)
	v_mul_lo_u32 v10, s19, v2
	v_mad_u64_u32 v[7:8], null, s18, v2, 0
	v_mul_lo_u32 v11, s18, v9
	s_delay_alu instid0(VALU_DEP_2) | instskip(NEXT) | instid1(VALU_DEP_2)
	v_sub_co_u32 v7, vcc_lo, v5, v7
	v_add3_u32 v8, v8, v11, v10
	s_delay_alu instid0(VALU_DEP_1) | instskip(NEXT) | instid1(VALU_DEP_1)
	v_sub_nc_u32_e32 v10, v6, v8
	v_subrev_co_ci_u32_e64 v10, s2, s19, v10, vcc_lo
	v_add_co_u32 v11, s2, v2, 2
	s_delay_alu instid0(VALU_DEP_1) | instskip(SKIP_3) | instid1(VALU_DEP_3)
	v_add_co_ci_u32_e64 v12, s2, 0, v9, s2
	v_sub_co_u32 v13, s2, v7, s18
	v_sub_co_ci_u32_e32 v8, vcc_lo, v6, v8, vcc_lo
	v_subrev_co_ci_u32_e64 v10, s2, 0, v10, s2
	v_cmp_le_u32_e32 vcc_lo, s18, v13
	s_delay_alu instid0(VALU_DEP_3) | instskip(SKIP_1) | instid1(VALU_DEP_4)
	v_cmp_eq_u32_e64 s2, s19, v8
	v_cndmask_b32_e64 v13, 0, -1, vcc_lo
	v_cmp_le_u32_e32 vcc_lo, s19, v10
	v_cndmask_b32_e64 v14, 0, -1, vcc_lo
	v_cmp_le_u32_e32 vcc_lo, s18, v7
	;; [unrolled: 2-line block ×3, first 2 shown]
	v_cndmask_b32_e64 v15, 0, -1, vcc_lo
	v_cmp_eq_u32_e32 vcc_lo, s19, v10
	s_delay_alu instid0(VALU_DEP_2) | instskip(SKIP_3) | instid1(VALU_DEP_3)
	v_cndmask_b32_e64 v7, v15, v7, s2
	v_cndmask_b32_e32 v10, v14, v13, vcc_lo
	v_add_co_u32 v13, vcc_lo, v2, 1
	v_add_co_ci_u32_e32 v14, vcc_lo, 0, v9, vcc_lo
	v_cmp_ne_u32_e32 vcc_lo, 0, v10
	s_delay_alu instid0(VALU_DEP_2) | instskip(NEXT) | instid1(VALU_DEP_4)
	v_cndmask_b32_e32 v8, v14, v12, vcc_lo
	v_cndmask_b32_e32 v10, v13, v11, vcc_lo
	v_cmp_ne_u32_e32 vcc_lo, 0, v7
	s_delay_alu instid0(VALU_DEP_2)
	v_dual_cndmask_b32 v7, v2, v10 :: v_dual_cndmask_b32 v8, v9, v8
.LBB0_4:                                ;   in Loop: Header=BB0_2 Depth=1
	s_and_not1_saveexec_b32 s2, s3
	s_cbranch_execz .LBB0_6
; %bb.5:                                ;   in Loop: Header=BB0_2 Depth=1
	v_cvt_f32_u32_e32 v2, s18
	s_sub_i32 s3, 0, s18
	s_delay_alu instid0(VALU_DEP_1) | instskip(SKIP_2) | instid1(VALU_DEP_1)
	v_rcp_iflag_f32_e32 v2, v2
	s_waitcnt_depctr 0xfff
	v_mul_f32_e32 v2, 0x4f7ffffe, v2
	v_cvt_u32_f32_e32 v2, v2
	s_delay_alu instid0(VALU_DEP_1) | instskip(NEXT) | instid1(VALU_DEP_1)
	v_mul_lo_u32 v7, s3, v2
	v_mul_hi_u32 v7, v2, v7
	s_delay_alu instid0(VALU_DEP_1) | instskip(NEXT) | instid1(VALU_DEP_1)
	v_add_nc_u32_e32 v2, v2, v7
	v_mul_hi_u32 v2, v5, v2
	s_delay_alu instid0(VALU_DEP_1) | instskip(SKIP_1) | instid1(VALU_DEP_2)
	v_mul_lo_u32 v7, v2, s18
	v_add_nc_u32_e32 v8, 1, v2
	v_sub_nc_u32_e32 v7, v5, v7
	s_delay_alu instid0(VALU_DEP_1) | instskip(SKIP_1) | instid1(VALU_DEP_2)
	v_subrev_nc_u32_e32 v9, s18, v7
	v_cmp_le_u32_e32 vcc_lo, s18, v7
	v_dual_cndmask_b32 v7, v7, v9 :: v_dual_cndmask_b32 v2, v2, v8
	s_delay_alu instid0(VALU_DEP_1) | instskip(NEXT) | instid1(VALU_DEP_2)
	v_cmp_le_u32_e32 vcc_lo, s18, v7
	v_add_nc_u32_e32 v8, 1, v2
	s_delay_alu instid0(VALU_DEP_1)
	v_dual_cndmask_b32 v7, v2, v8 :: v_dual_mov_b32 v8, v1
.LBB0_6:                                ;   in Loop: Header=BB0_2 Depth=1
	s_or_b32 exec_lo, exec_lo, s2
	s_load_b64 s[2:3], s[12:13], 0x0
	s_delay_alu instid0(VALU_DEP_1) | instskip(NEXT) | instid1(VALU_DEP_2)
	v_mul_lo_u32 v2, v8, s18
	v_mul_lo_u32 v11, v7, s19
	v_mad_u64_u32 v[9:10], null, v7, s18, 0
	s_add_u32 s16, s16, 1
	s_addc_u32 s17, s17, 0
	s_add_u32 s12, s12, 8
	s_addc_u32 s13, s13, 0
	;; [unrolled: 2-line block ×3, first 2 shown]
	s_delay_alu instid0(VALU_DEP_1) | instskip(SKIP_1) | instid1(VALU_DEP_2)
	v_add3_u32 v2, v10, v11, v2
	v_sub_co_u32 v9, vcc_lo, v5, v9
	v_sub_co_ci_u32_e32 v2, vcc_lo, v6, v2, vcc_lo
	s_waitcnt lgkmcnt(0)
	s_delay_alu instid0(VALU_DEP_2) | instskip(NEXT) | instid1(VALU_DEP_2)
	v_mul_lo_u32 v10, s3, v9
	v_mul_lo_u32 v2, s2, v2
	v_mad_u64_u32 v[5:6], null, s2, v9, v[3:4]
	v_cmp_ge_u64_e64 s2, s[16:17], s[6:7]
	s_delay_alu instid0(VALU_DEP_1) | instskip(NEXT) | instid1(VALU_DEP_2)
	s_and_b32 vcc_lo, exec_lo, s2
	v_add3_u32 v4, v10, v6, v2
	s_delay_alu instid0(VALU_DEP_3)
	v_mov_b32_e32 v3, v5
	s_cbranch_vccnz .LBB0_8
; %bb.7:                                ;   in Loop: Header=BB0_2 Depth=1
	v_dual_mov_b32 v5, v7 :: v_dual_mov_b32 v6, v8
	s_branch .LBB0_2
.LBB0_8:
	s_lshl_b64 s[2:3], s[6:7], 3
                                        ; implicit-def: $vgpr34_vgpr35
                                        ; implicit-def: $vgpr26_vgpr27
                                        ; implicit-def: $vgpr22_vgpr23
                                        ; implicit-def: $vgpr18_vgpr19
                                        ; implicit-def: $vgpr10_vgpr11
                                        ; implicit-def: $vgpr14_vgpr15
                                        ; implicit-def: $vgpr30_vgpr31
	s_delay_alu instid0(SALU_CYCLE_1)
	s_add_u32 s2, s10, s2
	s_addc_u32 s3, s11, s3
	s_load_b64 s[2:3], s[2:3], 0x0
	s_load_b64 s[0:1], s[0:1], 0x20
	s_waitcnt lgkmcnt(0)
	v_mul_lo_u32 v5, s2, v8
	v_mul_lo_u32 v6, s3, v7
	v_mad_u64_u32 v[1:2], null, s2, v7, v[3:4]
	v_mul_hi_u32 v3, 0x7c1f07d, v0
	v_cmp_gt_u64_e32 vcc_lo, s[0:1], v[7:8]
	s_delay_alu instid0(VALU_DEP_3) | instskip(NEXT) | instid1(VALU_DEP_3)
	v_add3_u32 v2, v6, v2, v5
                                        ; implicit-def: $vgpr6_vgpr7
	v_mul_u32_u24_e32 v3, 33, v3
	s_delay_alu instid0(VALU_DEP_2) | instskip(NEXT) | instid1(VALU_DEP_2)
	v_lshlrev_b64 v[48:49], 4, v[1:2]
	v_sub_nc_u32_e32 v50, v0, v3
                                        ; implicit-def: $vgpr2_vgpr3
	s_and_saveexec_b32 s1, vcc_lo
; %bb.9:
	v_mov_b32_e32 v51, 0
	s_delay_alu instid0(VALU_DEP_3) | instskip(NEXT) | instid1(VALU_DEP_1)
	v_add_co_u32 v2, s0, s8, v48
	v_add_co_ci_u32_e64 v3, s0, s9, v49, s0
	s_delay_alu instid0(VALU_DEP_3) | instskip(NEXT) | instid1(VALU_DEP_1)
	v_lshlrev_b64 v[0:1], 4, v[50:51]
	v_add_co_u32 v24, s0, v2, v0
	s_delay_alu instid0(VALU_DEP_1)
	v_add_co_ci_u32_e64 v25, s0, v3, v1, s0
	s_clause 0x3
	global_load_b128 v[0:3], v[24:25], off
	global_load_b128 v[28:31], v[24:25], off offset:528
	global_load_b128 v[12:15], v[24:25], off offset:1056
	;; [unrolled: 1-line block ×3, first 2 shown]
	v_add_co_u32 v32, s0, 0x1000, v24
	s_delay_alu instid0(VALU_DEP_1)
	v_add_co_ci_u32_e64 v33, s0, 0, v25, s0
	s_clause 0x4
	global_load_b128 v[16:19], v[24:25], off offset:2112
	global_load_b128 v[4:7], v[24:25], off offset:2640
	;; [unrolled: 1-line block ×5, first 2 shown]
; %bb.10:
	s_or_b32 exec_lo, exec_lo, s1
	s_waitcnt vmcnt(0)
	v_add_f64 v[37:38], v[28:29], -v[32:33]
	v_add_f64 v[39:40], v[30:31], -v[34:35]
	v_add_f64 v[28:29], v[32:33], v[28:29]
	v_add_f64 v[41:42], v[18:19], -v[6:7]
	v_add_f64 v[43:44], v[24:25], v[12:13]
	v_add_f64 v[45:46], v[6:7], v[18:19]
	v_add_f64 v[51:52], v[16:17], -v[4:5]
	v_add_f64 v[53:54], v[26:27], v[14:15]
	v_add_f64 v[32:33], v[4:5], v[16:17]
	;; [unrolled: 1-line block ×3, first 2 shown]
	s_mov_b32 s0, 0x8c811c17
	s_mov_b32 s6, 0xa2cf5039
	;; [unrolled: 1-line block ×6, first 2 shown]
	v_add_f64 v[14:15], v[14:15], -v[26:27]
	v_add_f64 v[12:13], v[12:13], -v[24:25]
	v_add_f64 v[73:74], v[20:21], v[8:9]
	v_add_f64 v[75:76], v[10:11], -v[22:23]
	v_add_f64 v[10:11], v[22:23], v[10:11]
	v_add_f64 v[8:9], v[8:9], -v[20:21]
	s_mov_b32 s10, 0x42522d1b
	s_mov_b32 s11, 0xbfee11f6
	v_mul_f64 v[26:27], v[37:38], s[2:3]
	v_mul_f64 v[34:35], v[39:40], s[2:3]
	v_fma_f64 v[55:56], v[28:29], s[6:7], v[0:1]
	v_mul_f64 v[59:60], v[41:42], s[0:1]
	v_fma_f64 v[61:62], v[43:44], s[6:7], v[0:1]
	s_mov_b32 s3, 0xbfe491b7
	v_fma_f64 v[24:25], v[45:46], s[6:7], v[2:3]
	v_mul_f64 v[65:66], v[51:52], s[0:1]
	v_fma_f64 v[67:68], v[53:54], s[6:7], v[2:3]
	v_fma_f64 v[57:58], v[32:33], s[6:7], v[0:1]
	v_mul_f64 v[63:64], v[41:42], s[2:3]
	v_mul_f64 v[69:70], v[51:52], s[2:3]
	v_fma_f64 v[71:72], v[30:31], s[6:7], v[2:3]
	s_mov_b32 s6, 0x7e0b738b
	s_mov_b32 s7, 0x3fc63a1a
	v_add_f64 v[77:78], v[43:44], v[28:29]
	v_add_f64 v[22:23], v[53:54], v[30:31]
	;; [unrolled: 1-line block ×3, first 2 shown]
	v_fma_f64 v[20:21], v[12:13], s[0:1], v[26:27]
	v_fma_f64 v[34:35], v[14:15], s[0:1], v[34:35]
	;; [unrolled: 1-line block ×3, first 2 shown]
	v_fma_f64 v[59:60], v[14:15], s[2:3], -v[59:60]
	v_fma_f64 v[61:62], v[32:33], s[6:7], v[61:62]
	v_fma_f64 v[24:25], v[30:31], s[6:7], v[24:25]
	v_fma_f64 v[26:27], v[12:13], s[2:3], -v[65:66]
	v_fma_f64 v[65:66], v[45:46], s[6:7], v[67:68]
	v_fma_f64 v[57:58], v[28:29], s[6:7], v[57:58]
	;; [unrolled: 1-line block ×5, first 2 shown]
	s_mov_b32 s3, 0x3febb67a
	s_mov_b32 s2, 0xe8584cab
	v_add_f64 v[71:72], v[41:42], v[39:40]
	v_add_f64 v[81:82], v[32:33], v[77:78]
	;; [unrolled: 1-line block ×5, first 2 shown]
	s_mov_b32 s7, 0xbfebb67a
	s_mov_b32 s6, s2
	;; [unrolled: 1-line block ×4, first 2 shown]
	v_fma_f64 v[20:21], v[8:9], s[2:3], v[20:21]
	v_fma_f64 v[34:35], v[75:76], s[2:3], v[34:35]
	v_fma_f64 v[55:56], v[73:74], -0.5, v[55:56]
	v_fma_f64 v[59:60], v[75:76], s[2:3], v[59:60]
	v_fma_f64 v[61:62], v[73:74], -0.5, v[61:62]
	v_fma_f64 v[24:25], v[10:11], -0.5, v[24:25]
	v_fma_f64 v[26:27], v[8:9], s[2:3], v[26:27]
	v_fma_f64 v[65:66], v[10:11], -0.5, v[65:66]
	v_fma_f64 v[57:58], v[73:74], -0.5, v[57:58]
	v_fma_f64 v[63:64], v[75:76], s[6:7], v[63:64]
	v_add_f64 v[73:74], v[51:52], v[37:38]
	v_add_f64 v[75:76], v[10:11], v[2:3]
	v_fma_f64 v[8:9], v[8:9], s[6:7], v[67:68]
	v_fma_f64 v[10:11], v[10:11], -0.5, v[69:70]
	v_add_f64 v[67:68], v[71:72], -v[14:15]
	v_fma_f64 v[69:70], v[81:82], -0.5, v[79:80]
	v_add_f64 v[16:17], v[16:17], v[77:78]
	v_add_f64 v[18:19], v[18:19], v[22:23]
	v_fma_f64 v[20:21], v[51:52], s[0:1], v[20:21]
	v_fma_f64 v[34:35], v[41:42], s[0:1], v[34:35]
	;; [unrolled: 1-line block ×10, first 2 shown]
	v_add_f64 v[43:44], v[73:74], -v[12:13]
	v_fma_f64 v[55:56], v[83:84], -0.5, v[75:76]
	v_fma_f64 v[8:9], v[12:13], s[0:1], v[8:9]
	v_fma_f64 v[10:11], v[45:46], s[10:11], v[10:11]
	v_mul_hi_u32 v45, 0x24924925, v36
	v_mul_f64 v[12:13], v[67:68], s[2:3]
	v_add_f64 v[4:5], v[4:5], v[16:17]
	v_fma_f64 v[16:17], v[67:68], s[6:7], v[69:70]
	v_add_f64 v[6:7], v[6:7], v[18:19]
	s_mov_b32 s6, 0xe8584caa
	v_cmp_gt_u32_e64 s0, 27, v50
	v_sub_nc_u32_e32 v37, v36, v45
	s_delay_alu instid0(VALU_DEP_1)
	v_lshrrev_b32_e32 v46, 1, v37
	v_add_f64 v[30:31], v[32:33], -v[34:35]
	v_add_f64 v[28:29], v[28:29], -v[39:40]
	v_add_f64 v[26:27], v[24:25], v[26:27]
	v_add_f64 v[32:33], v[41:42], -v[14:15]
	v_mul_f64 v[37:38], v[43:44], s[2:3]
	v_fma_f64 v[18:19], v[43:44], s[2:3], v[55:56]
	v_add_f64 v[22:23], v[8:9], v[22:23]
	v_add_f64 v[41:42], v[20:21], v[10:11]
	v_add_nc_u32_e32 v10, v46, v45
	v_add_nc_u16 v45, v50, 33
	v_add_nc_u16 v46, v50, 0x42
	v_and_b32_e32 v11, 0xff, v50
	v_add_f64 v[4:5], v[0:1], v[4:5]
	v_lshrrev_b32_e32 v10, 2, v10
	v_and_b32_e32 v43, 0xff, v45
	v_and_b32_e32 v44, 0xff, v46
	v_mul_lo_u16 v47, v11, 57
	s_mov_b32 s2, s6
	v_mul_lo_u32 v51, v10, 7
	v_mul_lo_u16 v43, v43, 57
	v_mul_lo_u16 v44, v44, 57
	v_fma_f64 v[10:11], v[12:13], 2.0, v[16:17]
	v_lshrrev_b16 v79, 9, v47
	s_delay_alu instid0(VALU_DEP_4) | instskip(NEXT) | instid1(VALU_DEP_4)
	v_lshrrev_b16 v80, 9, v43
	v_lshrrev_b16 v81, 9, v44
	v_sub_nc_u32_e32 v0, v36, v51
	s_delay_alu instid0(VALU_DEP_4) | instskip(NEXT) | instid1(VALU_DEP_4)
	v_mul_lo_u16 v1, v79, 9
	v_mul_lo_u16 v47, v80, 9
	s_delay_alu instid0(VALU_DEP_4) | instskip(NEXT) | instid1(VALU_DEP_4)
	v_mul_lo_u16 v51, v81, 9
	v_mul_u32_u24_e32 v0, 0x129, v0
	s_delay_alu instid0(VALU_DEP_4)
	v_sub_nc_u16 v1, v50, v1
	v_fma_f64 v[12:13], v[34:35], 2.0, v[30:31]
	v_fma_f64 v[34:35], v[39:40], 2.0, v[28:29]
	v_add_f64 v[39:40], v[2:3], v[6:7]
	v_lshlrev_b32_e32 v82, 3, v0
	v_sub_nc_u16 v2, v45, v47
	v_fma_f64 v[24:25], v[24:25], -2.0, v[26:27]
	v_sub_nc_u16 v3, v46, v51
	v_fma_f64 v[14:15], v[14:15], 2.0, v[32:33]
	v_add_nc_u32_e32 v0, 0, v82
	v_fma_f64 v[36:37], v[37:38], -2.0, v[18:19]
	v_fma_f64 v[43:44], v[8:9], -2.0, v[22:23]
	;; [unrolled: 1-line block ×3, first 2 shown]
	v_lshlrev_b32_e32 v6, 6, v50
	v_mad_u32_u24 v38, 0x48, v50, v0
	v_and_b32_e32 v83, 0xff, v1
	v_and_b32_e32 v84, 0xff, v2
	;; [unrolled: 1-line block ×3, first 2 shown]
	v_lshl_add_u32 v56, v50, 3, v0
	v_sub_nc_u32_e32 v55, v38, v6
	v_lshlrev_b32_e32 v45, 5, v83
	v_lshlrev_b32_e32 v46, 5, v84
	;; [unrolled: 1-line block ×3, first 2 shown]
	ds_store_2addr_b64 v38, v[4:5], v[30:31] offset1:1
	ds_store_2addr_b64 v38, v[32:33], v[16:17] offset0:2 offset1:3
	ds_store_b64 v38, v[12:13] offset:64
	ds_store_2addr_b64 v38, v[28:29], v[34:35] offset0:4 offset1:5
	ds_store_2addr_b64 v38, v[10:11], v[14:15] offset0:6 offset1:7
	v_add_nc_u32_e32 v0, 0x400, v55
	s_waitcnt lgkmcnt(0)
	s_barrier
	buffer_gl0_inv
	ds_load_b64 v[69:70], v56
	ds_load_2addr_b64 v[1:4], v55 offset0:99 offset1:132
	ds_load_2addr_b64 v[5:8], v55 offset0:165 offset1:198
	;; [unrolled: 1-line block ×4, first 2 shown]
	s_waitcnt lgkmcnt(0)
	s_barrier
	buffer_gl0_inv
	ds_store_2addr_b64 v38, v[39:40], v[41:42] offset1:1
	ds_store_2addr_b64 v38, v[22:23], v[18:19] offset0:2 offset1:3
	ds_store_2addr_b64 v38, v[26:27], v[24:25] offset0:4 offset1:5
	;; [unrolled: 1-line block ×3, first 2 shown]
	ds_store_b64 v38, v[20:21] offset:64
	s_waitcnt lgkmcnt(0)
	s_barrier
	buffer_gl0_inv
	s_clause 0x5
	global_load_b128 v[17:20], v45, s[4:5]
	global_load_b128 v[21:24], v45, s[4:5] offset:16
	global_load_b128 v[34:37], v46, s[4:5]
	global_load_b128 v[44:47], v46, s[4:5] offset:16
	;; [unrolled: 2-line block ×3, first 2 shown]
	ds_load_2addr_b64 v[40:43], v55 offset0:99 offset1:132
	ds_load_2addr_b64 v[61:64], v55 offset0:165 offset1:198
	ds_load_2addr_b64 v[65:68], v0 offset0:103 offset1:136
	s_waitcnt vmcnt(5) lgkmcnt(2)
	v_mul_f64 v[25:26], v[40:41], v[19:20]
	s_waitcnt vmcnt(4) lgkmcnt(1)
	v_mul_f64 v[27:28], v[63:64], v[23:24]
	s_waitcnt vmcnt(3)
	v_mul_f64 v[29:30], v[42:43], v[36:37]
	s_waitcnt vmcnt(2) lgkmcnt(0)
	v_mul_f64 v[31:32], v[65:66], v[46:47]
	s_waitcnt vmcnt(1)
	v_mul_f64 v[71:72], v[61:62], v[53:54]
	s_waitcnt vmcnt(0)
	v_mul_f64 v[73:74], v[67:68], v[59:60]
	v_mul_f64 v[19:20], v[1:2], v[19:20]
	;; [unrolled: 1-line block ×7, first 2 shown]
	v_fma_f64 v[36:37], v[1:2], v[17:18], v[25:26]
	v_fma_f64 v[38:39], v[7:8], v[21:22], v[27:28]
	;; [unrolled: 1-line block ×6, first 2 shown]
	v_fma_f64 v[40:41], v[40:41], v[17:18], -v[19:20]
	v_fma_f64 v[26:27], v[63:64], v[21:22], -v[75:76]
	;; [unrolled: 1-line block ×6, first 2 shown]
	v_lshlrev_b32_e32 v57, 3, v83
	v_lshlrev_b32_e32 v58, 3, v84
	;; [unrolled: 1-line block ×3, first 2 shown]
	v_add_f64 v[7:8], v[69:70], v[36:37]
	v_add_f64 v[1:2], v[36:37], v[38:39]
	;; [unrolled: 1-line block ×6, first 2 shown]
	v_add_f64 v[14:15], v[40:41], -v[26:27]
	v_add_f64 v[20:21], v[42:43], -v[34:35]
	;; [unrolled: 1-line block ×3, first 2 shown]
	v_add_f64 v[51:52], v[7:8], v[38:39]
	v_fma_f64 v[1:2], v[1:2], -0.5, v[69:70]
	v_fma_f64 v[9:10], v[3:4], -0.5, v[9:10]
	v_add_f64 v[18:19], v[18:19], v[30:31]
	v_fma_f64 v[53:54], v[5:6], -0.5, v[11:12]
	v_add_f64 v[12:13], v[16:17], v[32:33]
	v_and_b32_e32 v3, 0xffff, v81
	s_delay_alu instid0(VALU_DEP_1)
	v_mad_u32_u24 v3, 0xd8, v3, 0
	v_fma_f64 v[4:5], v[14:15], s[6:7], v[1:2]
	v_fma_f64 v[6:7], v[14:15], s[2:3], v[1:2]
	;; [unrolled: 1-line block ×6, first 2 shown]
	ds_load_b64 v[53:54], v56
	ds_load_2addr_b64 v[8:11], v55 offset0:33 offset1:66
	v_and_b32_e32 v1, 0xffff, v79
	v_and_b32_e32 v2, 0xffff, v80
	s_waitcnt lgkmcnt(0)
	s_barrier
	buffer_gl0_inv
	v_mad_u32_u24 v1, 0xd8, v1, 0
	v_mad_u32_u24 v2, 0xd8, v2, 0
	s_delay_alu instid0(VALU_DEP_2) | instskip(NEXT) | instid1(VALU_DEP_2)
	v_add3_u32 v59, v1, v57, v82
	v_add3_u32 v58, v2, v58, v82
	v_add3_u32 v57, v3, v60, v82
	ds_store_2addr_b64 v59, v[51:52], v[4:5] offset1:9
	ds_store_b64 v59, v[6:7] offset:144
	ds_store_2addr_b64 v58, v[12:13], v[14:15] offset1:9
	ds_store_b64 v58, v[16:17] offset:144
	;; [unrolled: 2-line block ×3, first 2 shown]
	s_waitcnt lgkmcnt(0)
	s_barrier
	buffer_gl0_inv
                                        ; implicit-def: $vgpr2_vgpr3
	s_and_saveexec_b32 s1, s0
	s_cbranch_execz .LBB0_12
; %bb.11:
	ds_load_b64 v[51:52], v56
	ds_load_2addr_b64 v[4:7], v55 offset0:27 offset1:54
	ds_load_2addr_b64 v[12:15], v55 offset0:81 offset1:108
	;; [unrolled: 1-line block ×5, first 2 shown]
.LBB0_12:
	s_or_b32 exec_lo, exec_lo, s1
	v_add_f64 v[60:61], v[40:41], v[26:27]
	v_add_f64 v[62:63], v[42:43], v[34:35]
	;; [unrolled: 1-line block ×4, first 2 shown]
	v_add_f64 v[36:37], v[36:37], -v[38:39]
	v_add_f64 v[38:39], v[8:9], v[42:43]
	v_add_f64 v[42:43], v[10:11], v[44:45]
	v_add_f64 v[32:33], v[28:29], -v[32:33]
	s_waitcnt lgkmcnt(0)
	s_barrier
	buffer_gl0_inv
	v_fma_f64 v[44:45], v[60:61], -0.5, v[53:54]
	v_fma_f64 v[8:9], v[62:63], -0.5, v[8:9]
	v_add_f64 v[60:61], v[24:25], -v[30:31]
	v_fma_f64 v[10:11], v[64:65], -0.5, v[10:11]
	v_add_f64 v[53:54], v[40:41], v[26:27]
	v_add_f64 v[28:29], v[38:39], v[34:35]
	;; [unrolled: 1-line block ×3, first 2 shown]
	v_fma_f64 v[24:25], v[36:37], s[2:3], v[44:45]
	v_fma_f64 v[26:27], v[36:37], s[6:7], v[44:45]
	v_fma_f64 v[30:31], v[32:33], s[2:3], v[8:9]
	v_fma_f64 v[32:33], v[32:33], s[6:7], v[8:9]
	v_fma_f64 v[36:37], v[60:61], s[2:3], v[10:11]
	v_fma_f64 v[38:39], v[60:61], s[6:7], v[10:11]
                                        ; implicit-def: $vgpr10_vgpr11
	ds_store_2addr_b64 v59, v[53:54], v[24:25] offset1:9
	ds_store_b64 v59, v[26:27] offset:144
	ds_store_2addr_b64 v58, v[28:29], v[30:31] offset1:9
	ds_store_b64 v58, v[32:33] offset:144
	ds_store_2addr_b64 v57, v[34:35], v[36:37] offset1:9
	ds_store_b64 v57, v[38:39] offset:144
	s_waitcnt lgkmcnt(0)
	s_barrier
	buffer_gl0_inv
	s_and_saveexec_b32 s1, s0
	s_cbranch_execnz .LBB0_15
; %bb.13:
	s_or_b32 exec_lo, exec_lo, s1
	s_and_b32 s0, vcc_lo, s0
	s_delay_alu instid0(SALU_CYCLE_1)
	s_and_saveexec_b32 s1, s0
	s_cbranch_execnz .LBB0_16
.LBB0_14:
	s_endpgm
.LBB0_15:
	v_add_nc_u32_e32 v8, 0x400, v55
	ds_load_b64 v[53:54], v56
	ds_load_2addr_b64 v[24:27], v55 offset0:27 offset1:54
	ds_load_2addr_b64 v[28:31], v55 offset0:81 offset1:108
	;; [unrolled: 1-line block ×5, first 2 shown]
	s_or_b32 exec_lo, exec_lo, s1
	s_and_b32 s0, vcc_lo, s0
	s_delay_alu instid0(SALU_CYCLE_1)
	s_and_saveexec_b32 s1, s0
	s_cbranch_execz .LBB0_14
.LBB0_16:
	v_mul_u32_u24_e32 v40, 10, v50
	s_mov_b32 s18, 0xbb3a28a1
	s_mov_b32 s14, 0xfd768dbf
	;; [unrolled: 1-line block ×4, first 2 shown]
	v_lshlrev_b32_e32 v40, 4, v40
	s_mov_b32 s12, 0xf8bb580b
	s_mov_b32 s15, 0xbfd207e7
	;; [unrolled: 1-line block ×4, first 2 shown]
	s_clause 0x9
	global_load_b128 v[55:58], v40, s[4:5] offset:288
	global_load_b128 v[59:62], v40, s[4:5] offset:352
	;; [unrolled: 1-line block ×10, first 2 shown]
	s_mov_b32 s20, 0x8eee2c13
	s_mov_b32 s13, 0x3fe14ced
	;; [unrolled: 1-line block ×18, first 2 shown]
	s_waitcnt vmcnt(9)
	v_mul_f64 v[87:88], v[4:5], v[57:58]
	s_waitcnt lgkmcnt(4)
	v_mul_f64 v[57:58], v[24:25], v[57:58]
	s_waitcnt vmcnt(8) lgkmcnt(2)
	v_mul_f64 v[89:90], v[32:33], v[61:62]
	s_waitcnt vmcnt(7)
	v_mul_f64 v[91:92], v[34:35], v[65:66]
	s_waitcnt vmcnt(6)
	v_mul_f64 v[93:94], v[28:29], v[69:70]
	s_waitcnt vmcnt(5) lgkmcnt(1)
	v_mul_f64 v[95:96], v[38:39], v[73:74]
	v_mul_f64 v[61:62], v[16:17], v[61:62]
	s_waitcnt vmcnt(4)
	v_mul_f64 v[97:98], v[30:31], v[77:78]
	s_waitcnt vmcnt(3)
	v_mul_f64 v[99:100], v[36:37], v[81:82]
	v_mul_f64 v[65:66], v[18:19], v[65:66]
	;; [unrolled: 1-line block ×4, first 2 shown]
	s_waitcnt vmcnt(2)
	v_mul_f64 v[101:102], v[6:7], v[85:86]
	v_mul_f64 v[85:86], v[26:27], v[85:86]
	s_waitcnt vmcnt(1) lgkmcnt(0)
	v_mul_f64 v[103:104], v[10:11], v[46:47]
	v_mul_f64 v[46:47], v[2:3], v[46:47]
	;; [unrolled: 1-line block ×4, first 2 shown]
	v_fma_f64 v[24:25], v[24:25], v[55:56], -v[87:88]
	v_fma_f64 v[55:56], v[4:5], v[55:56], v[57:58]
	v_fma_f64 v[87:88], v[16:17], v[59:60], v[89:90]
	s_waitcnt vmcnt(0)
	v_mul_f64 v[57:58], v[8:9], v[42:43]
	v_fma_f64 v[89:90], v[12:13], v[67:68], v[93:94]
	v_fma_f64 v[4:5], v[22:23], v[71:72], v[95:96]
	v_fma_f64 v[22:23], v[32:33], v[59:60], -v[61:62]
	v_fma_f64 v[32:33], v[14:15], v[75:76], v[97:98]
	v_fma_f64 v[14:15], v[20:21], v[79:80], v[99:100]
	v_fma_f64 v[20:21], v[34:35], v[63:64], -v[65:66]
	v_fma_f64 v[12:13], v[38:39], v[71:72], -v[73:74]
	v_fma_f64 v[16:17], v[36:37], v[79:80], -v[81:82]
	v_fma_f64 v[26:27], v[26:27], v[83:84], -v[101:102]
	v_fma_f64 v[36:37], v[6:7], v[83:84], v[85:86]
	v_mul_f64 v[42:43], v[0:1], v[42:43]
	v_fma_f64 v[2:3], v[2:3], v[44:45], v[103:104]
	v_fma_f64 v[6:7], v[10:11], v[44:45], -v[46:47]
	v_fma_f64 v[18:19], v[18:19], v[63:64], v[91:92]
	v_fma_f64 v[30:31], v[30:31], v[75:76], -v[77:78]
	v_fma_f64 v[28:29], v[28:29], v[67:68], -v[69:70]
	v_add_f64 v[34:35], v[53:54], v[24:25]
	v_add_f64 v[38:39], v[51:52], v[55:56]
	v_fma_f64 v[0:1], v[0:1], v[40:41], v[57:58]
	v_add_f64 v[10:11], v[89:90], -v[4:5]
	v_add_f64 v[75:76], v[89:90], v[4:5]
	v_add_f64 v[77:78], v[32:33], v[14:15]
	v_add_f64 v[57:58], v[22:23], -v[20:21]
	v_add_f64 v[67:68], v[22:23], v[20:21]
	v_fma_f64 v[8:9], v[8:9], v[40:41], -v[42:43]
	v_add_f64 v[59:60], v[55:56], -v[2:3]
	v_add_f64 v[61:62], v[24:25], -v[6:7]
	;; [unrolled: 1-line block ×6, first 2 shown]
	v_add_f64 v[71:72], v[28:29], v[12:13]
	v_add_f64 v[24:25], v[24:25], v[6:7]
	;; [unrolled: 1-line block ×7, first 2 shown]
	v_add_f64 v[63:64], v[36:37], -v[0:1]
	v_add_f64 v[36:37], v[36:37], v[0:1]
	v_mul_f64 v[79:80], v[10:11], s[18:19]
	v_mul_f64 v[83:84], v[10:11], s[24:25]
	;; [unrolled: 1-line block ×6, first 2 shown]
	v_add_f64 v[65:66], v[26:27], -v[8:9]
	v_mul_f64 v[101:102], v[59:60], s[14:15]
	v_mul_f64 v[103:104], v[59:60], s[18:19]
	;; [unrolled: 1-line block ×10, first 2 shown]
	v_add_f64 v[26:27], v[26:27], v[8:9]
	v_mul_f64 v[133:134], v[44:45], s[24:25]
	v_mul_f64 v[131:132], v[44:45], s[18:19]
	;; [unrolled: 1-line block ×12, first 2 shown]
	v_add_f64 v[28:29], v[28:29], v[34:35]
	v_add_f64 v[38:39], v[89:90], v[38:39]
	v_mul_f64 v[34:35], v[44:45], s[20:21]
	s_mov_b32 s21, 0xbfed1bb4
	v_mul_f64 v[89:90], v[59:60], s[16:17]
	v_mul_f64 v[59:60], v[59:60], s[20:21]
	;; [unrolled: 1-line block ×8, first 2 shown]
	v_fma_f64 v[153:154], v[71:72], s[10:11], v[83:84]
	v_fma_f64 v[155:156], v[71:72], s[2:3], v[95:96]
	v_mul_f64 v[123:124], v[65:66], s[12:13]
	v_mul_f64 v[125:126], v[65:66], s[22:23]
	v_fma_f64 v[159:160], v[24:25], s[2:3], v[101:102]
	v_fma_f64 v[101:102], v[24:25], s[2:3], -v[101:102]
	v_fma_f64 v[161:162], v[24:25], s[6:7], v[103:104]
	v_fma_f64 v[103:104], v[24:25], s[6:7], -v[103:104]
	v_fma_f64 v[167:168], v[55:56], s[6:7], -v[109:110]
	v_fma_f64 v[109:110], v[55:56], s[6:7], v[109:110]
	v_fma_f64 v[95:96], v[71:72], s[2:3], -v[95:96]
	v_fma_f64 v[157:158], v[71:72], s[0:1], v[10:11]
	v_fma_f64 v[10:11], v[71:72], s[0:1], -v[10:11]
	v_mul_f64 v[127:128], v[65:66], s[26:27]
	v_fma_f64 v[169:170], v[55:56], s[0:1], -v[111:112]
	v_fma_f64 v[111:112], v[55:56], s[0:1], v[111:112]
	v_mul_f64 v[129:130], v[65:66], s[18:19]
	v_fma_f64 v[165:166], v[24:25], s[10:11], v[105:106]
	v_fma_f64 v[105:106], v[24:25], s[10:11], -v[105:106]
	v_mul_f64 v[65:66], v[65:66], s[20:21]
	v_fma_f64 v[171:172], v[55:56], s[10:11], -v[113:114]
	v_fma_f64 v[113:114], v[55:56], s[10:11], v[113:114]
	v_mul_f64 v[44:45], v[44:45], s[16:17]
	v_mul_f64 v[139:140], v[40:41], s[18:19]
	;; [unrolled: 1-line block ×4, first 2 shown]
	v_add_f64 v[28:29], v[30:31], v[28:29]
	v_add_f64 v[32:33], v[32:33], v[38:39]
	v_fma_f64 v[30:31], v[71:72], s[6:7], v[79:80]
	v_fma_f64 v[79:80], v[71:72], s[6:7], -v[79:80]
	v_fma_f64 v[38:39], v[71:72], s[10:11], -v[83:84]
	v_fma_f64 v[83:84], v[71:72], s[4:5], v[91:92]
	v_fma_f64 v[91:92], v[71:72], s[4:5], -v[91:92]
	v_fma_f64 v[71:72], v[55:56], s[2:3], -v[107:108]
	v_fma_f64 v[107:108], v[55:56], s[2:3], v[107:108]
	v_fma_f64 v[163:164], v[24:25], s[0:1], v[89:90]
	v_fma_f64 v[89:90], v[24:25], s[0:1], -v[89:90]
	v_fma_f64 v[177:178], v[24:25], s[4:5], v[59:60]
	v_fma_f64 v[24:25], v[24:25], s[4:5], -v[59:60]
	;; [unrolled: 2-line block ×7, first 2 shown]
	v_fma_f64 v[185:186], v[26:27], s[4:5], v[63:64]
	v_add_f64 v[103:104], v[53:54], v[103:104]
	v_add_f64 v[109:110], v[51:52], v[109:110]
	;; [unrolled: 1-line block ×6, first 2 shown]
	v_fma_f64 v[183:184], v[36:37], s[6:7], -v[129:130]
	v_fma_f64 v[129:130], v[36:37], s[6:7], v[129:130]
	v_add_f64 v[169:170], v[51:52], v[169:170]
	v_add_f64 v[165:166], v[53:54], v[165:166]
	;; [unrolled: 1-line block ×6, first 2 shown]
	v_fma_f64 v[28:29], v[26:27], s[6:7], -v[121:122]
	v_fma_f64 v[87:88], v[36:37], s[10:11], v[123:124]
	v_fma_f64 v[123:124], v[36:37], s[0:1], v[125:126]
	v_fma_f64 v[26:27], v[26:27], s[4:5], -v[63:64]
	v_add_f64 v[63:64], v[53:54], v[101:102]
	v_add_f64 v[71:72], v[51:52], v[71:72]
	v_add_f64 v[107:108], v[51:52], v[107:108]
	v_fma_f64 v[121:122], v[36:37], s[0:1], -v[125:126]
	v_fma_f64 v[125:126], v[36:37], s[2:3], -v[127:128]
	v_fma_f64 v[127:128], v[36:37], s[2:3], v[127:128]
	v_add_f64 v[163:164], v[53:54], v[163:164]
	v_add_f64 v[89:90], v[53:54], v[89:90]
	;; [unrolled: 1-line block ×4, first 2 shown]
	v_fma_f64 v[101:102], v[36:37], s[4:5], -v[65:66]
	v_fma_f64 v[36:37], v[36:37], s[4:5], v[65:66]
	v_add_f64 v[177:178], v[53:54], v[177:178]
	v_add_f64 v[55:56], v[51:52], v[55:56]
	v_fma_f64 v[53:54], v[75:76], s[10:11], -v[133:134]
	v_fma_f64 v[133:134], v[75:76], s[10:11], v[133:134]
	v_fma_f64 v[65:66], v[75:76], s[6:7], -v[131:132]
	v_fma_f64 v[131:132], v[75:76], s[6:7], v[131:132]
	v_add_f64 v[103:104], v[117:118], v[103:104]
	v_add_f64 v[159:160], v[173:174], v[159:160]
	;; [unrolled: 1-line block ×3, first 2 shown]
	v_mul_f64 v[173:174], v[57:58], s[18:19]
	v_fma_f64 v[175:176], v[67:68], s[4:5], v[93:94]
	v_fma_f64 v[93:94], v[67:68], s[4:5], -v[93:94]
	v_add_f64 v[20:21], v[20:21], v[22:23]
	v_add_f64 v[18:19], v[18:19], v[32:33]
	;; [unrolled: 1-line block ×3, first 2 shown]
	v_fma_f64 v[22:23], v[75:76], s[4:5], -v[34:35]
	v_add_f64 v[109:110], v[123:124], v[109:110]
	v_fma_f64 v[34:35], v[75:76], s[4:5], v[34:35]
	v_add_f64 v[63:64], v[115:116], v[63:64]
	v_add_f64 v[61:62], v[61:62], v[71:72]
	;; [unrolled: 1-line block ×4, first 2 shown]
	v_fma_f64 v[51:52], v[75:76], s[2:3], -v[135:136]
	v_add_f64 v[111:112], v[127:128], v[111:112]
	v_add_f64 v[59:60], v[59:60], v[163:164]
	;; [unrolled: 1-line block ×3, first 2 shown]
	v_fma_f64 v[135:136], v[75:76], s[2:3], v[135:136]
	v_add_f64 v[24:25], v[28:29], v[24:25]
	v_add_f64 v[28:29], v[129:130], v[181:182]
	;; [unrolled: 1-line block ×3, first 2 shown]
	v_fma_f64 v[171:172], v[75:76], s[0:1], -v[44:45]
	v_fma_f64 v[44:45], v[75:76], s[0:1], v[44:45]
	v_add_f64 v[119:120], v[185:186], v[165:166]
	v_add_f64 v[26:27], v[26:27], v[105:106]
	v_add_f64 v[36:37], v[36:37], v[113:114]
	v_add_f64 v[105:106], v[179:180], v[177:178]
	v_add_f64 v[55:56], v[183:184], v[55:56]
	v_mul_f64 v[75:76], v[57:58], s[16:17]
	v_mul_f64 v[71:72], v[57:58], s[12:13]
	;; [unrolled: 1-line block ×3, first 2 shown]
	v_fma_f64 v[167:168], v[69:70], s[2:3], v[137:138]
	v_fma_f64 v[137:138], v[69:70], s[2:3], -v[137:138]
	v_fma_f64 v[127:128], v[77:78], s[2:3], v[147:148]
	v_add_f64 v[38:39], v[38:39], v[103:104]
	v_fma_f64 v[107:108], v[69:70], s[4:5], v[85:86]
	v_fma_f64 v[85:86], v[69:70], s[4:5], -v[85:86]
	v_fma_f64 v[113:114], v[69:70], s[0:1], -v[145:146]
	v_fma_f64 v[123:124], v[69:70], s[6:7], v[42:43]
	v_fma_f64 v[42:43], v[69:70], s[6:7], -v[42:43]
	v_add_f64 v[30:31], v[30:31], v[159:160]
	v_add_f64 v[16:17], v[16:17], v[20:21]
	;; [unrolled: 1-line block ×4, first 2 shown]
	v_fma_f64 v[20:21], v[69:70], s[10:11], v[141:142]
	v_fma_f64 v[32:33], v[69:70], s[10:11], -v[141:142]
	v_fma_f64 v[101:102], v[69:70], s[0:1], v[145:146]
	v_add_f64 v[63:64], v[79:80], v[63:64]
	v_add_f64 v[79:80], v[133:134], v[109:110]
	v_fma_f64 v[69:70], v[77:78], s[4:5], -v[97:98]
	v_fma_f64 v[97:98], v[77:78], s[4:5], v[97:98]
	v_add_f64 v[61:62], v[65:66], v[61:62]
	v_add_f64 v[65:66], v[131:132], v[87:88]
	v_fma_f64 v[125:126], v[77:78], s[2:3], -v[147:148]
	v_fma_f64 v[129:130], v[77:78], s[10:11], -v[149:150]
	v_fma_f64 v[141:142], v[77:78], s[10:11], v[149:150]
	v_fma_f64 v[145:146], v[77:78], s[0:1], -v[151:152]
	v_fma_f64 v[147:148], v[77:78], s[0:1], v[151:152]
	;; [unrolled: 2-line block ×3, first 2 shown]
	v_add_f64 v[77:78], v[153:154], v[161:162]
	v_add_f64 v[53:54], v[53:54], v[121:122]
	;; [unrolled: 1-line block ×13, first 2 shown]
	v_fma_f64 v[115:116], v[67:68], s[0:1], v[81:82]
	v_fma_f64 v[81:82], v[67:68], s[0:1], -v[81:82]
	v_fma_f64 v[51:52], v[67:68], s[6:7], v[139:140]
	v_fma_f64 v[55:56], v[67:68], s[6:7], -v[139:140]
	;; [unrolled: 2-line block ×3, first 2 shown]
	v_add_f64 v[12:13], v[12:13], v[16:17]
	v_add_f64 v[4:5], v[4:5], v[14:15]
	;; [unrolled: 1-line block ×3, first 2 shown]
	v_fma_f64 v[95:96], v[67:68], s[2:3], v[40:41]
	v_fma_f64 v[40:41], v[67:68], s[2:3], -v[40:41]
	v_fma_f64 v[16:17], v[73:74], s[0:1], -v[75:76]
	v_fma_f64 v[18:19], v[73:74], s[0:1], v[75:76]
	v_fma_f64 v[67:68], v[73:74], s[4:5], -v[99:100]
	v_fma_f64 v[75:76], v[73:74], s[4:5], v[99:100]
	;; [unrolled: 2-line block ×5, first 2 shown]
	v_add_f64 v[38:39], v[137:138], v[38:39]
	v_add_f64 v[73:74], v[127:128], v[79:80]
	;; [unrolled: 1-line block ×35, first 2 shown]
	v_mov_b32_e32 v51, 0
	v_add_f64 v[24:25], v[99:100], v[77:78]
	v_add_f64 v[34:35], v[40:41], v[42:43]
	;; [unrolled: 1-line block ×9, first 2 shown]
	v_lshlrev_b64 v[0:1], 4, v[50:51]
	v_add_co_u32 v6, vcc_lo, s8, v48
	v_add_co_ci_u32_e32 v7, vcc_lo, s9, v49, vcc_lo
	s_delay_alu instid0(VALU_DEP_2) | instskip(NEXT) | instid1(VALU_DEP_2)
	v_add_co_u32 v0, vcc_lo, v6, v0
	v_add_co_ci_u32_e32 v1, vcc_lo, v7, v1, vcc_lo
	s_delay_alu instid0(VALU_DEP_2) | instskip(NEXT) | instid1(VALU_DEP_2)
	v_add_co_u32 v6, vcc_lo, 0x1000, v0
	v_add_co_ci_u32_e32 v7, vcc_lo, 0, v1, vcc_lo
	s_clause 0xa
	global_store_b128 v[0:1], v[20:23], off offset:1728
	global_store_b128 v[0:1], v[12:15], off offset:2160
	;; [unrolled: 1-line block ×9, first 2 shown]
	global_store_b128 v[0:1], v[44:47], off
	global_store_b128 v[6:7], v[2:5], off offset:224
	s_nop 0
	s_sendmsg sendmsg(MSG_DEALLOC_VGPRS)
	s_endpgm
	.section	.rodata,"a",@progbits
	.p2align	6, 0x0
	.amdhsa_kernel fft_rtc_back_len297_factors_9_3_11_wgs_231_tpt_33_halfLds_dp_ip_CI_unitstride_sbrr_dirReg
		.amdhsa_group_segment_fixed_size 0
		.amdhsa_private_segment_fixed_size 0
		.amdhsa_kernarg_size 88
		.amdhsa_user_sgpr_count 15
		.amdhsa_user_sgpr_dispatch_ptr 0
		.amdhsa_user_sgpr_queue_ptr 0
		.amdhsa_user_sgpr_kernarg_segment_ptr 1
		.amdhsa_user_sgpr_dispatch_id 0
		.amdhsa_user_sgpr_private_segment_size 0
		.amdhsa_wavefront_size32 1
		.amdhsa_uses_dynamic_stack 0
		.amdhsa_enable_private_segment 0
		.amdhsa_system_sgpr_workgroup_id_x 1
		.amdhsa_system_sgpr_workgroup_id_y 0
		.amdhsa_system_sgpr_workgroup_id_z 0
		.amdhsa_system_sgpr_workgroup_info 0
		.amdhsa_system_vgpr_workitem_id 0
		.amdhsa_next_free_vgpr 187
		.amdhsa_next_free_sgpr 28
		.amdhsa_reserve_vcc 1
		.amdhsa_float_round_mode_32 0
		.amdhsa_float_round_mode_16_64 0
		.amdhsa_float_denorm_mode_32 3
		.amdhsa_float_denorm_mode_16_64 3
		.amdhsa_dx10_clamp 1
		.amdhsa_ieee_mode 1
		.amdhsa_fp16_overflow 0
		.amdhsa_workgroup_processor_mode 1
		.amdhsa_memory_ordered 1
		.amdhsa_forward_progress 0
		.amdhsa_shared_vgpr_count 0
		.amdhsa_exception_fp_ieee_invalid_op 0
		.amdhsa_exception_fp_denorm_src 0
		.amdhsa_exception_fp_ieee_div_zero 0
		.amdhsa_exception_fp_ieee_overflow 0
		.amdhsa_exception_fp_ieee_underflow 0
		.amdhsa_exception_fp_ieee_inexact 0
		.amdhsa_exception_int_div_zero 0
	.end_amdhsa_kernel
	.text
.Lfunc_end0:
	.size	fft_rtc_back_len297_factors_9_3_11_wgs_231_tpt_33_halfLds_dp_ip_CI_unitstride_sbrr_dirReg, .Lfunc_end0-fft_rtc_back_len297_factors_9_3_11_wgs_231_tpt_33_halfLds_dp_ip_CI_unitstride_sbrr_dirReg
                                        ; -- End function
	.section	.AMDGPU.csdata,"",@progbits
; Kernel info:
; codeLenInByte = 7160
; NumSgprs: 30
; NumVgprs: 187
; ScratchSize: 0
; MemoryBound: 1
; FloatMode: 240
; IeeeMode: 1
; LDSByteSize: 0 bytes/workgroup (compile time only)
; SGPRBlocks: 3
; VGPRBlocks: 23
; NumSGPRsForWavesPerEU: 30
; NumVGPRsForWavesPerEU: 187
; Occupancy: 8
; WaveLimiterHint : 1
; COMPUTE_PGM_RSRC2:SCRATCH_EN: 0
; COMPUTE_PGM_RSRC2:USER_SGPR: 15
; COMPUTE_PGM_RSRC2:TRAP_HANDLER: 0
; COMPUTE_PGM_RSRC2:TGID_X_EN: 1
; COMPUTE_PGM_RSRC2:TGID_Y_EN: 0
; COMPUTE_PGM_RSRC2:TGID_Z_EN: 0
; COMPUTE_PGM_RSRC2:TIDIG_COMP_CNT: 0
	.text
	.p2alignl 7, 3214868480
	.fill 96, 4, 3214868480
	.type	__hip_cuid_c61c5aadf15624d2,@object ; @__hip_cuid_c61c5aadf15624d2
	.section	.bss,"aw",@nobits
	.globl	__hip_cuid_c61c5aadf15624d2
__hip_cuid_c61c5aadf15624d2:
	.byte	0                               ; 0x0
	.size	__hip_cuid_c61c5aadf15624d2, 1

	.ident	"AMD clang version 19.0.0git (https://github.com/RadeonOpenCompute/llvm-project roc-6.4.0 25133 c7fe45cf4b819c5991fe208aaa96edf142730f1d)"
	.section	".note.GNU-stack","",@progbits
	.addrsig
	.addrsig_sym __hip_cuid_c61c5aadf15624d2
	.amdgpu_metadata
---
amdhsa.kernels:
  - .args:
      - .actual_access:  read_only
        .address_space:  global
        .offset:         0
        .size:           8
        .value_kind:     global_buffer
      - .offset:         8
        .size:           8
        .value_kind:     by_value
      - .actual_access:  read_only
        .address_space:  global
        .offset:         16
        .size:           8
        .value_kind:     global_buffer
      - .actual_access:  read_only
        .address_space:  global
        .offset:         24
        .size:           8
        .value_kind:     global_buffer
      - .offset:         32
        .size:           8
        .value_kind:     by_value
      - .actual_access:  read_only
        .address_space:  global
        .offset:         40
        .size:           8
        .value_kind:     global_buffer
      - .actual_access:  read_only
        .address_space:  global
        .offset:         48
        .size:           8
        .value_kind:     global_buffer
      - .offset:         56
        .size:           4
        .value_kind:     by_value
      - .actual_access:  read_only
        .address_space:  global
        .offset:         64
        .size:           8
        .value_kind:     global_buffer
      - .actual_access:  read_only
        .address_space:  global
        .offset:         72
        .size:           8
        .value_kind:     global_buffer
      - .address_space:  global
        .offset:         80
        .size:           8
        .value_kind:     global_buffer
    .group_segment_fixed_size: 0
    .kernarg_segment_align: 8
    .kernarg_segment_size: 88
    .language:       OpenCL C
    .language_version:
      - 2
      - 0
    .max_flat_workgroup_size: 231
    .name:           fft_rtc_back_len297_factors_9_3_11_wgs_231_tpt_33_halfLds_dp_ip_CI_unitstride_sbrr_dirReg
    .private_segment_fixed_size: 0
    .sgpr_count:     30
    .sgpr_spill_count: 0
    .symbol:         fft_rtc_back_len297_factors_9_3_11_wgs_231_tpt_33_halfLds_dp_ip_CI_unitstride_sbrr_dirReg.kd
    .uniform_work_group_size: 1
    .uses_dynamic_stack: false
    .vgpr_count:     187
    .vgpr_spill_count: 0
    .wavefront_size: 32
    .workgroup_processor_mode: 1
amdhsa.target:   amdgcn-amd-amdhsa--gfx1100
amdhsa.version:
  - 1
  - 2
...

	.end_amdgpu_metadata
